;; amdgpu-corpus repo=zjin-lcf/HeCBench kind=compiled arch=gfx906 opt=O3
	.amdgcn_target "amdgcn-amd-amdhsa--gfx906"
	.amdhsa_code_object_version 6
	.text
	.protected	_Z11rng_wallacejPfS_PKf ; -- Begin function _Z11rng_wallacejPfS_PKf
	.globl	_Z11rng_wallacejPfS_PKf
	.p2align	8
	.type	_Z11rng_wallacejPfS_PKf,@function
_Z11rng_wallacejPfS_PKf:                ; @_Z11rng_wallacejPfS_PKf
; %bb.0:
	s_load_dwordx4 s[0:3], s[4:5], 0x8
	v_lshl_or_b32 v21, s6, 11, v0
	v_mov_b32_e32 v22, 0
	v_lshlrev_b64 v[19:20], 2, v[21:22]
	v_or_b32_e32 v3, 0x400, v21
	v_mov_b32_e32 v4, v22
	s_waitcnt lgkmcnt(0)
	v_mov_b32_e32 v10, s1
	v_add_co_u32_e32 v1, vcc, s0, v19
	v_lshlrev_b64 v[13:14], 2, v[3:4]
	v_addc_co_u32_e32 v2, vcc, v10, v20, vcc
	v_add_u32_e32 v5, 0x500, v21
	v_mov_b32_e32 v6, v22
	v_add_co_u32_e32 v3, vcc, s0, v13
	v_lshlrev_b64 v[11:12], 2, v[5:6]
	v_addc_co_u32_e32 v4, vcc, v10, v14, vcc
	v_add_u32_e32 v7, 0x600, v21
	v_mov_b32_e32 v8, v22
	v_add_co_u32_e32 v5, vcc, s0, v11
	v_lshlrev_b64 v[15:16], 2, v[7:8]
	v_addc_co_u32_e32 v6, vcc, v10, v12, vcc
	v_add_u32_e32 v21, 0x700, v21
	v_add_co_u32_e32 v7, vcc, s0, v15
	v_lshlrev_b64 v[17:18], 2, v[21:22]
	v_addc_co_u32_e32 v8, vcc, v10, v16, vcc
	v_add_co_u32_e32 v9, vcc, s0, v17
	v_addc_co_u32_e32 v10, vcc, v10, v18, vcc
	global_load_dword v23, v[1:2], off
	global_load_dword v24, v[1:2], off offset:1024
	global_load_dword v25, v[1:2], off offset:2048
	;; [unrolled: 1-line block ×3, first 2 shown]
	global_load_dword v27, v[3:4], off
	global_load_dword v28, v[5:6], off
	;; [unrolled: 1-line block ×4, first 2 shown]
	v_lshlrev_b32_e32 v21, 2, v0
	s_mov_b32 s7, 0
	v_cmp_eq_u32_e32 vcc, 0, v0
	s_waitcnt vmcnt(6)
	ds_write2st64_b32 v21, v23, v24 offset1:4
	s_waitcnt vmcnt(4)
	ds_write2st64_b32 v21, v25, v26 offset0:8 offset1:12
	s_waitcnt vmcnt(2)
	ds_write2st64_b32 v21, v27, v28 offset0:16 offset1:20
	s_waitcnt vmcnt(0)
	ds_write2st64_b32 v21, v29, v30 offset0:24 offset1:28
	s_waitcnt lgkmcnt(0)
	s_barrier
	s_and_saveexec_b64 s[0:1], vcc
	s_cbranch_execz .LBB0_2
; %bb.1:
	s_load_dwordx2 s[8:9], s[4:5], 0x18
	s_lshl_b64 s[6:7], s[6:7], 2
	s_waitcnt lgkmcnt(0)
	s_add_u32 s6, s8, s6
	s_addc_u32 s7, s9, s7
	s_load_dword s6, s[6:7], 0x0
	s_waitcnt lgkmcnt(0)
	v_mov_b32_e32 v23, s6
	ds_write_b32 v22, v23 offset:8192
.LBB0_2:
	s_or_b64 exec, exec, s[0:1]
	s_waitcnt lgkmcnt(0)
	s_barrier
	ds_read_b32 v26, v22 offset:8192
	ds_read2st64_b32 v[22:23], v21 offset1:4
	v_mov_b32_e32 v24, s3
	v_add_co_u32_e32 v19, vcc, s2, v19
	v_addc_co_u32_e32 v20, vcc, v24, v20, vcc
	ds_read2st64_b32 v[24:25], v21 offset0:8 offset1:12
	s_waitcnt lgkmcnt(1)
	v_mul_f32_e32 v22, v26, v22
	global_store_dword v[19:20], v22, off
	v_mul_f32_e32 v22, v26, v23
	global_store_dword v[19:20], v22, off offset:1024
	ds_read2st64_b32 v[22:23], v21 offset0:16 offset1:20
	s_waitcnt lgkmcnt(1)
	v_mul_f32_e32 v24, v26, v24
	global_store_dword v[19:20], v24, off offset:2048
	v_mul_f32_e32 v24, v26, v25
	s_load_dword s0, s[4:5], 0x0
	global_store_dword v[19:20], v24, off offset:3072
	v_mov_b32_e32 v20, s3
	v_add_co_u32_e32 v13, vcc, s2, v13
	s_waitcnt lgkmcnt(0)
	v_mul_f32_e32 v19, v26, v22
	v_addc_co_u32_e32 v14, vcc, v20, v14, vcc
	global_store_dword v[13:14], v19, off
	ds_read2st64_b32 v[13:14], v21 offset0:24 offset1:28
	v_add_co_u32_e32 v11, vcc, s2, v11
	s_mul_i32 s0, s0, 0x19660d
	v_mul_f32_e32 v19, v26, v23
	v_addc_co_u32_e32 v12, vcc, v20, v12, vcc
	s_add_i32 s0, s0, 0x3c6ef35f
	global_store_dword v[11:12], v19, off
	v_mov_b32_e32 v12, s3
	v_add_co_u32_e32 v11, vcc, s2, v15
	s_waitcnt lgkmcnt(0)
	v_mul_f32_e32 v13, v26, v13
	v_addc_co_u32_e32 v12, vcc, v12, v16, vcc
	v_add_u32_e32 v0, s0, v0
	s_movk_i32 s0, 0x1e20
	global_store_dword v[11:12], v13, off
	v_mul_f32_e32 v13, v26, v14
	v_mul_lo_u32 v14, v0, s0
	s_mov_b32 s0, 0x1c5c20
	v_mov_b32_e32 v12, s3
	v_add_co_u32_e32 v11, vcc, s2, v17
	v_mul_lo_u32 v15, v0, s0
	v_addc_co_u32_e32 v12, vcc, v12, v18, vcc
	s_mov_b32 s0, 0x1ab2ba20
	global_store_dword v[11:12], v13, off
	v_mul_lo_u32 v13, v0, s0
	s_mov_b32 s0, 0x22413820
	v_add_u32_e32 v11, 0x760, v14
	v_mul_lo_u32 v14, v0, s0
	s_mov_b32 s0, 0x3f65d620
	v_add_u32_e32 v12, 0x6f8c0, v15
	v_mul_lo_u32 v15, v0, s0
	s_mov_b32 s0, 0xaede9420
	v_mul_lo_u32 v16, v0, s0
	s_mov_b32 s0, 0x9f897220
	;; [unrolled: 2-line block ×3, first 2 shown]
	v_mul_lo_u32 v0, v0, s0
	v_add_u32_e32 v13, 0x6903420, v13
	v_add_u32_e32 v14, 0x2dc11980, v14
	;; [unrolled: 1-line block ×6, first 2 shown]
	v_and_b32_e32 v0, 0x7f8, v0
	v_and_b32_e32 v11, 0x1fe0, v11
	;; [unrolled: 1-line block ×8, first 2 shown]
	v_lshlrev_b32_e32 v0, 2, v0
	ds_read_b32 v11, v11
	ds_read_b32 v12, v12 offset:4
	ds_read_b32 v13, v13 offset:8
	;; [unrolled: 1-line block ×7, first 2 shown]
	s_waitcnt lgkmcnt(6)
	v_add_f32_e32 v18, v11, v12
	s_waitcnt lgkmcnt(5)
	v_add_f32_e32 v18, v18, v13
	;; [unrolled: 2-line block ×3, first 2 shown]
	v_fmac_f32_e32 v11, -0.5, v18
	v_fmac_f32_e32 v12, -0.5, v18
	s_waitcnt vmcnt(0) lgkmcnt(0)
	s_barrier
	v_fma_f32 v13, v18, 0.5, -v13
	v_fma_f32 v14, v18, 0.5, -v14
	ds_write2st64_b32 v21, v11, v12 offset1:4
	ds_write2st64_b32 v21, v13, v14 offset0:8 offset1:12
	v_add_f32_e32 v11, v15, v16
	v_add_f32_e32 v11, v11, v17
	;; [unrolled: 1-line block ×3, first 2 shown]
	v_fma_f32 v12, v11, 0.5, -v15
	v_fma_f32 v13, v11, 0.5, -v16
	v_fmac_f32_e32 v17, -0.5, v11
	v_fmac_f32_e32 v0, -0.5, v11
	ds_write2st64_b32 v21, v12, v13 offset0:16 offset1:20
	ds_write2st64_b32 v21, v17, v0 offset0:24 offset1:28
	s_waitcnt lgkmcnt(0)
	s_barrier
	ds_read2st64_b32 v[11:12], v21 offset1:4
	ds_read2st64_b32 v[13:14], v21 offset0:8 offset1:12
	ds_read2st64_b32 v[15:16], v21 offset0:16 offset1:20
	s_waitcnt lgkmcnt(2)
	global_store_dword v[1:2], v11, off
	global_store_dword v[1:2], v12, off offset:1024
	ds_read2st64_b32 v[11:12], v21 offset0:24 offset1:28
	s_waitcnt lgkmcnt(2)
	global_store_dword v[1:2], v13, off offset:2048
	global_store_dword v[1:2], v14, off offset:3072
	s_waitcnt lgkmcnt(1)
	global_store_dword v[3:4], v15, off
	global_store_dword v[5:6], v16, off
	s_waitcnt lgkmcnt(0)
	global_store_dword v[7:8], v11, off
	global_store_dword v[9:10], v12, off
	s_endpgm
	.section	.rodata,"a",@progbits
	.p2align	6, 0x0
	.amdhsa_kernel _Z11rng_wallacejPfS_PKf
		.amdhsa_group_segment_fixed_size 8196
		.amdhsa_private_segment_fixed_size 0
		.amdhsa_kernarg_size 32
		.amdhsa_user_sgpr_count 6
		.amdhsa_user_sgpr_private_segment_buffer 1
		.amdhsa_user_sgpr_dispatch_ptr 0
		.amdhsa_user_sgpr_queue_ptr 0
		.amdhsa_user_sgpr_kernarg_segment_ptr 1
		.amdhsa_user_sgpr_dispatch_id 0
		.amdhsa_user_sgpr_flat_scratch_init 0
		.amdhsa_user_sgpr_private_segment_size 0
		.amdhsa_uses_dynamic_stack 0
		.amdhsa_system_sgpr_private_segment_wavefront_offset 0
		.amdhsa_system_sgpr_workgroup_id_x 1
		.amdhsa_system_sgpr_workgroup_id_y 0
		.amdhsa_system_sgpr_workgroup_id_z 0
		.amdhsa_system_sgpr_workgroup_info 0
		.amdhsa_system_vgpr_workitem_id 0
		.amdhsa_next_free_vgpr 31
		.amdhsa_next_free_sgpr 61
		.amdhsa_reserve_vcc 1
		.amdhsa_reserve_flat_scratch 0
		.amdhsa_float_round_mode_32 0
		.amdhsa_float_round_mode_16_64 0
		.amdhsa_float_denorm_mode_32 3
		.amdhsa_float_denorm_mode_16_64 3
		.amdhsa_dx10_clamp 1
		.amdhsa_ieee_mode 1
		.amdhsa_fp16_overflow 0
		.amdhsa_exception_fp_ieee_invalid_op 0
		.amdhsa_exception_fp_denorm_src 0
		.amdhsa_exception_fp_ieee_div_zero 0
		.amdhsa_exception_fp_ieee_overflow 0
		.amdhsa_exception_fp_ieee_underflow 0
		.amdhsa_exception_fp_ieee_inexact 0
		.amdhsa_exception_int_div_zero 0
	.end_amdhsa_kernel
	.text
.Lfunc_end0:
	.size	_Z11rng_wallacejPfS_PKf, .Lfunc_end0-_Z11rng_wallacejPfS_PKf
                                        ; -- End function
	.set _Z11rng_wallacejPfS_PKf.num_vgpr, 31
	.set _Z11rng_wallacejPfS_PKf.num_agpr, 0
	.set _Z11rng_wallacejPfS_PKf.numbered_sgpr, 10
	.set _Z11rng_wallacejPfS_PKf.num_named_barrier, 0
	.set _Z11rng_wallacejPfS_PKf.private_seg_size, 0
	.set _Z11rng_wallacejPfS_PKf.uses_vcc, 1
	.set _Z11rng_wallacejPfS_PKf.uses_flat_scratch, 0
	.set _Z11rng_wallacejPfS_PKf.has_dyn_sized_stack, 0
	.set _Z11rng_wallacejPfS_PKf.has_recursion, 0
	.set _Z11rng_wallacejPfS_PKf.has_indirect_call, 0
	.section	.AMDGPU.csdata,"",@progbits
; Kernel info:
; codeLenInByte = 1156
; TotalNumSgprs: 14
; NumVgprs: 31
; ScratchSize: 0
; MemoryBound: 0
; FloatMode: 240
; IeeeMode: 1
; LDSByteSize: 8196 bytes/workgroup (compile time only)
; SGPRBlocks: 8
; VGPRBlocks: 7
; NumSGPRsForWavesPerEU: 65
; NumVGPRsForWavesPerEU: 31
; Occupancy: 8
; WaveLimiterHint : 1
; COMPUTE_PGM_RSRC2:SCRATCH_EN: 0
; COMPUTE_PGM_RSRC2:USER_SGPR: 6
; COMPUTE_PGM_RSRC2:TRAP_HANDLER: 0
; COMPUTE_PGM_RSRC2:TGID_X_EN: 1
; COMPUTE_PGM_RSRC2:TGID_Y_EN: 0
; COMPUTE_PGM_RSRC2:TGID_Z_EN: 0
; COMPUTE_PGM_RSRC2:TIDIG_COMP_CNT: 0
	.section	.AMDGPU.gpr_maximums,"",@progbits
	.set amdgpu.max_num_vgpr, 0
	.set amdgpu.max_num_agpr, 0
	.set amdgpu.max_num_sgpr, 0
	.section	.AMDGPU.csdata,"",@progbits
	.type	__hip_cuid_190242f01b6bafae,@object ; @__hip_cuid_190242f01b6bafae
	.section	.bss,"aw",@nobits
	.globl	__hip_cuid_190242f01b6bafae
__hip_cuid_190242f01b6bafae:
	.byte	0                               ; 0x0
	.size	__hip_cuid_190242f01b6bafae, 1

	.ident	"AMD clang version 22.0.0git (https://github.com/RadeonOpenCompute/llvm-project roc-7.2.4 26084 f58b06dce1f9c15707c5f808fd002e18c2accf7e)"
	.section	".note.GNU-stack","",@progbits
	.addrsig
	.addrsig_sym __hip_cuid_190242f01b6bafae
	.amdgpu_metadata
---
amdhsa.kernels:
  - .args:
      - .offset:         0
        .size:           4
        .value_kind:     by_value
      - .address_space:  global
        .offset:         8
        .size:           8
        .value_kind:     global_buffer
      - .actual_access:  write_only
        .address_space:  global
        .offset:         16
        .size:           8
        .value_kind:     global_buffer
      - .address_space:  global
        .offset:         24
        .size:           8
        .value_kind:     global_buffer
    .group_segment_fixed_size: 8196
    .kernarg_segment_align: 8
    .kernarg_segment_size: 32
    .language:       OpenCL C
    .language_version:
      - 2
      - 0
    .max_flat_workgroup_size: 1024
    .name:           _Z11rng_wallacejPfS_PKf
    .private_segment_fixed_size: 0
    .sgpr_count:     14
    .sgpr_spill_count: 0
    .symbol:         _Z11rng_wallacejPfS_PKf.kd
    .uniform_work_group_size: 1
    .uses_dynamic_stack: false
    .vgpr_count:     31
    .vgpr_spill_count: 0
    .wavefront_size: 64
amdhsa.target:   amdgcn-amd-amdhsa--gfx906
amdhsa.version:
  - 1
  - 2
...

	.end_amdgpu_metadata
